;; amdgpu-corpus repo=ROCm/rocFFT kind=compiled arch=gfx950 opt=O3
	.text
	.amdgcn_target "amdgcn-amd-amdhsa--gfx950"
	.amdhsa_code_object_version 6
	.protected	fft_rtc_back_len840_factors_2_2_2_3_5_7_wgs_56_tpt_56_halfLds_sp_ip_CI_unitstride_sbrr_dirReg ; -- Begin function fft_rtc_back_len840_factors_2_2_2_3_5_7_wgs_56_tpt_56_halfLds_sp_ip_CI_unitstride_sbrr_dirReg
	.globl	fft_rtc_back_len840_factors_2_2_2_3_5_7_wgs_56_tpt_56_halfLds_sp_ip_CI_unitstride_sbrr_dirReg
	.p2align	8
	.type	fft_rtc_back_len840_factors_2_2_2_3_5_7_wgs_56_tpt_56_halfLds_sp_ip_CI_unitstride_sbrr_dirReg,@function
fft_rtc_back_len840_factors_2_2_2_3_5_7_wgs_56_tpt_56_halfLds_sp_ip_CI_unitstride_sbrr_dirReg: ; @fft_rtc_back_len840_factors_2_2_2_3_5_7_wgs_56_tpt_56_halfLds_sp_ip_CI_unitstride_sbrr_dirReg
; %bb.0:
	s_load_dwordx2 s[8:9], s[0:1], 0x50
	s_load_dwordx4 s[4:7], s[0:1], 0x0
	s_load_dwordx2 s[10:11], s[0:1], 0x18
	v_mul_u32_u24_e32 v1, 0x493, v0
	v_add_u32_sdwa v6, s2, v1 dst_sel:DWORD dst_unused:UNUSED_PAD src0_sel:DWORD src1_sel:WORD_1
	v_mov_b32_e32 v4, 0
	s_waitcnt lgkmcnt(0)
	v_cmp_lt_u64_e64 s[2:3], s[6:7], 2
	v_mov_b32_e32 v7, v4
	s_and_b64 vcc, exec, s[2:3]
	v_mov_b64_e32 v[2:3], 0
	s_cbranch_vccnz .LBB0_8
; %bb.1:
	s_load_dwordx2 s[2:3], s[0:1], 0x10
	s_add_u32 s12, s10, 8
	s_addc_u32 s13, s11, 0
	s_mov_b64 s[14:15], 1
	v_mov_b64_e32 v[2:3], 0
	s_waitcnt lgkmcnt(0)
	s_add_u32 s16, s2, 8
	s_addc_u32 s17, s3, 0
.LBB0_2:                                ; =>This Inner Loop Header: Depth=1
	s_load_dwordx2 s[18:19], s[16:17], 0x0
                                        ; implicit-def: $vgpr8_vgpr9
	s_waitcnt lgkmcnt(0)
	v_or_b32_e32 v5, s19, v7
	v_cmp_ne_u64_e32 vcc, 0, v[4:5]
	s_and_saveexec_b64 s[2:3], vcc
	s_xor_b64 s[20:21], exec, s[2:3]
	s_cbranch_execz .LBB0_4
; %bb.3:                                ;   in Loop: Header=BB0_2 Depth=1
	v_cvt_f32_u32_e32 v1, s18
	v_cvt_f32_u32_e32 v5, s19
	s_sub_u32 s2, 0, s18
	s_subb_u32 s3, 0, s19
	v_fmac_f32_e32 v1, 0x4f800000, v5
	v_rcp_f32_e32 v1, v1
	s_nop 0
	v_mul_f32_e32 v1, 0x5f7ffffc, v1
	v_mul_f32_e32 v5, 0x2f800000, v1
	v_trunc_f32_e32 v5, v5
	v_fmac_f32_e32 v1, 0xcf800000, v5
	v_cvt_u32_f32_e32 v5, v5
	v_cvt_u32_f32_e32 v1, v1
	v_mul_lo_u32 v8, s2, v5
	v_mul_hi_u32 v10, s2, v1
	v_mul_lo_u32 v9, s3, v1
	v_add_u32_e32 v10, v10, v8
	v_mul_lo_u32 v12, s2, v1
	v_add_u32_e32 v13, v10, v9
	v_mul_hi_u32 v8, v1, v12
	v_mul_hi_u32 v11, v1, v13
	v_mul_lo_u32 v10, v1, v13
	v_mov_b32_e32 v9, v4
	v_lshl_add_u64 v[8:9], v[8:9], 0, v[10:11]
	v_mul_hi_u32 v11, v5, v12
	v_mul_lo_u32 v12, v5, v12
	v_add_co_u32_e32 v8, vcc, v8, v12
	v_mul_hi_u32 v10, v5, v13
	s_nop 0
	v_addc_co_u32_e32 v8, vcc, v9, v11, vcc
	v_mov_b32_e32 v9, v4
	s_nop 0
	v_addc_co_u32_e32 v11, vcc, 0, v10, vcc
	v_mul_lo_u32 v10, v5, v13
	v_lshl_add_u64 v[8:9], v[8:9], 0, v[10:11]
	v_add_co_u32_e32 v1, vcc, v1, v8
	v_mul_lo_u32 v10, s2, v1
	s_nop 0
	v_addc_co_u32_e32 v5, vcc, v5, v9, vcc
	v_mul_lo_u32 v8, s2, v5
	v_mul_hi_u32 v9, s2, v1
	v_add_u32_e32 v8, v9, v8
	v_mul_lo_u32 v9, s3, v1
	v_add_u32_e32 v12, v8, v9
	v_mul_hi_u32 v14, v5, v10
	v_mul_lo_u32 v15, v5, v10
	v_mul_hi_u32 v9, v1, v12
	v_mul_lo_u32 v8, v1, v12
	v_mul_hi_u32 v10, v1, v10
	v_mov_b32_e32 v11, v4
	v_lshl_add_u64 v[8:9], v[10:11], 0, v[8:9]
	v_add_co_u32_e32 v8, vcc, v8, v15
	v_mul_hi_u32 v13, v5, v12
	s_nop 0
	v_addc_co_u32_e32 v8, vcc, v9, v14, vcc
	v_mul_lo_u32 v10, v5, v12
	s_nop 0
	v_addc_co_u32_e32 v11, vcc, 0, v13, vcc
	v_mov_b32_e32 v9, v4
	v_lshl_add_u64 v[8:9], v[8:9], 0, v[10:11]
	v_add_co_u32_e32 v1, vcc, v1, v8
	v_mul_hi_u32 v10, v6, v1
	s_nop 0
	v_addc_co_u32_e32 v5, vcc, v5, v9, vcc
	v_mad_u64_u32 v[8:9], s[2:3], v6, v5, 0
	v_mov_b32_e32 v11, v4
	v_lshl_add_u64 v[8:9], v[10:11], 0, v[8:9]
	v_mad_u64_u32 v[12:13], s[2:3], v7, v1, 0
	v_add_co_u32_e32 v1, vcc, v8, v12
	v_mad_u64_u32 v[10:11], s[2:3], v7, v5, 0
	s_nop 0
	v_addc_co_u32_e32 v8, vcc, v9, v13, vcc
	v_mov_b32_e32 v9, v4
	s_nop 0
	v_addc_co_u32_e32 v11, vcc, 0, v11, vcc
	v_lshl_add_u64 v[8:9], v[8:9], 0, v[10:11]
	v_mul_lo_u32 v1, s19, v8
	v_mul_lo_u32 v5, s18, v9
	v_mad_u64_u32 v[10:11], s[2:3], s18, v8, 0
	v_add3_u32 v1, v11, v5, v1
	v_sub_u32_e32 v5, v7, v1
	v_mov_b32_e32 v11, s19
	v_sub_co_u32_e32 v14, vcc, v6, v10
	v_lshl_add_u64 v[12:13], v[8:9], 0, 1
	s_nop 0
	v_subb_co_u32_e64 v5, s[2:3], v5, v11, vcc
	v_subrev_co_u32_e64 v10, s[2:3], s18, v14
	v_subb_co_u32_e32 v1, vcc, v7, v1, vcc
	s_nop 0
	v_subbrev_co_u32_e64 v5, s[2:3], 0, v5, s[2:3]
	v_cmp_le_u32_e64 s[2:3], s19, v5
	v_cmp_le_u32_e32 vcc, s19, v1
	s_nop 0
	v_cndmask_b32_e64 v11, 0, -1, s[2:3]
	v_cmp_le_u32_e64 s[2:3], s18, v10
	s_nop 1
	v_cndmask_b32_e64 v10, 0, -1, s[2:3]
	v_cmp_eq_u32_e64 s[2:3], s19, v5
	s_nop 1
	v_cndmask_b32_e64 v5, v11, v10, s[2:3]
	v_lshl_add_u64 v[10:11], v[8:9], 0, 2
	v_cmp_ne_u32_e64 s[2:3], 0, v5
	s_nop 1
	v_cndmask_b32_e64 v5, v13, v11, s[2:3]
	v_cndmask_b32_e64 v11, 0, -1, vcc
	v_cmp_le_u32_e32 vcc, s18, v14
	s_nop 1
	v_cndmask_b32_e64 v13, 0, -1, vcc
	v_cmp_eq_u32_e32 vcc, s19, v1
	s_nop 1
	v_cndmask_b32_e32 v1, v11, v13, vcc
	v_cmp_ne_u32_e32 vcc, 0, v1
	v_cndmask_b32_e64 v1, v12, v10, s[2:3]
	s_nop 0
	v_cndmask_b32_e32 v9, v9, v5, vcc
	v_cndmask_b32_e32 v8, v8, v1, vcc
.LBB0_4:                                ;   in Loop: Header=BB0_2 Depth=1
	s_andn2_saveexec_b64 s[2:3], s[20:21]
	s_cbranch_execz .LBB0_6
; %bb.5:                                ;   in Loop: Header=BB0_2 Depth=1
	v_cvt_f32_u32_e32 v1, s18
	s_sub_i32 s20, 0, s18
	v_rcp_iflag_f32_e32 v1, v1
	s_nop 0
	v_mul_f32_e32 v1, 0x4f7ffffe, v1
	v_cvt_u32_f32_e32 v1, v1
	v_mul_lo_u32 v5, s20, v1
	v_mul_hi_u32 v5, v1, v5
	v_add_u32_e32 v1, v1, v5
	v_mul_hi_u32 v1, v6, v1
	v_mul_lo_u32 v5, v1, s18
	v_sub_u32_e32 v5, v6, v5
	v_add_u32_e32 v8, 1, v1
	v_subrev_u32_e32 v9, s18, v5
	v_cmp_le_u32_e32 vcc, s18, v5
	s_nop 1
	v_cndmask_b32_e32 v5, v5, v9, vcc
	v_cndmask_b32_e32 v1, v1, v8, vcc
	v_add_u32_e32 v8, 1, v1
	v_cmp_le_u32_e32 vcc, s18, v5
	v_mov_b32_e32 v9, v4
	s_nop 0
	v_cndmask_b32_e32 v8, v1, v8, vcc
.LBB0_6:                                ;   in Loop: Header=BB0_2 Depth=1
	s_or_b64 exec, exec, s[2:3]
	v_mad_u64_u32 v[10:11], s[2:3], v8, s18, 0
	s_load_dwordx2 s[2:3], s[12:13], 0x0
	v_mul_lo_u32 v1, v9, s18
	v_mul_lo_u32 v5, v8, s19
	v_add3_u32 v1, v11, v5, v1
	v_sub_co_u32_e32 v5, vcc, v6, v10
	s_add_u32 s14, s14, 1
	s_nop 0
	v_subb_co_u32_e32 v1, vcc, v7, v1, vcc
	s_addc_u32 s15, s15, 0
	s_waitcnt lgkmcnt(0)
	v_mul_lo_u32 v1, s2, v1
	v_mul_lo_u32 v6, s3, v5
	v_mad_u64_u32 v[2:3], s[2:3], s2, v5, v[2:3]
	s_add_u32 s12, s12, 8
	v_add3_u32 v3, v6, v3, v1
	s_addc_u32 s13, s13, 0
	v_mov_b64_e32 v[6:7], s[6:7]
	s_add_u32 s16, s16, 8
	v_cmp_ge_u64_e32 vcc, s[14:15], v[6:7]
	s_addc_u32 s17, s17, 0
	s_cbranch_vccnz .LBB0_9
; %bb.7:                                ;   in Loop: Header=BB0_2 Depth=1
	v_mov_b64_e32 v[6:7], v[8:9]
	s_branch .LBB0_2
.LBB0_8:
	v_mov_b64_e32 v[8:9], v[6:7]
.LBB0_9:
	s_lshl_b64 s[2:3], s[6:7], 3
	s_add_u32 s2, s10, s2
	s_addc_u32 s3, s11, s3
	s_load_dwordx2 s[6:7], s[2:3], 0x0
	s_load_dwordx2 s[10:11], s[0:1], 0x20
	s_mov_b32 s2, 0x4924925
	v_mov_b32_e32 v28, 0
	v_mov_b32_e32 v29, v28
	s_waitcnt lgkmcnt(0)
	v_mul_lo_u32 v1, s6, v9
	v_mul_lo_u32 v4, s7, v8
	v_mad_u64_u32 v[2:3], s[0:1], s6, v8, v[2:3]
	v_add3_u32 v3, v4, v3, v1
	v_mul_hi_u32 v1, v0, s2
	v_mul_u32_u24_e32 v1, 56, v1
	v_cmp_gt_u64_e64 s[0:1], s[10:11], v[8:9]
	v_sub_u32_e32 v4, v0, v1
	v_lshl_add_u64 v[6:7], v[2:3], 3, s[8:9]
                                        ; implicit-def: $vgpr18
                                        ; implicit-def: $vgpr16
                                        ; implicit-def: $vgpr22
                                        ; implicit-def: $vgpr0
                                        ; implicit-def: $vgpr20
                                        ; implicit-def: $vgpr36
                                        ; implicit-def: $vgpr24
                                        ; implicit-def: $vgpr26
                                        ; implicit-def: $vgpr30
                                        ; implicit-def: $vgpr32
                                        ; implicit-def: $vgpr34
                                        ; implicit-def: $vgpr38
                                        ; implicit-def: $vgpr40
                                        ; implicit-def: $vgpr44
                                        ; implicit-def: $vgpr42
	s_and_saveexec_b64 s[2:3], s[0:1]
	s_cbranch_execz .LBB0_13
; %bb.10:
	v_mov_b32_e32 v5, 0
	v_lshl_add_u64 v[2:3], v[4:5], 3, v[6:7]
	v_add_co_u32_e32 v0, vcc, 0x1000, v2
	v_mov_b32_e32 v28, v5
	s_nop 0
	v_addc_co_u32_e32 v1, vcc, 0, v3, vcc
	global_load_dwordx2 v[20:21], v[2:3], off
	global_load_dwordx2 v[24:25], v[2:3], off offset:448
	global_load_dwordx2 v[26:27], v[2:3], off offset:896
	;; [unrolled: 1-line block ×13, first 2 shown]
	v_cmp_gt_u32_e32 vcc, 28, v4
                                        ; implicit-def: $vgpr1
	s_and_saveexec_b64 s[6:7], vcc
	s_cbranch_execz .LBB0_12
; %bb.11:
	v_add_co_u32_e32 v8, vcc, 0x1000, v2
	s_nop 1
	v_addc_co_u32_e32 v9, vcc, 0, v3, vcc
	global_load_dwordx2 v[28:29], v[2:3], off offset:3136
	global_load_dwordx2 v[0:1], v[8:9], off offset:2400
	s_waitcnt vmcnt(1)
	v_mov_b32_e32 v5, v29
.LBB0_12:
	s_or_b64 exec, exec, s[6:7]
	v_mov_b32_e32 v29, v5
.LBB0_13:
	s_or_b64 exec, exec, s[2:3]
	s_waitcnt vmcnt(3)
	v_sub_f32_e32 v3, v20, v36
	v_fma_f32 v2, v20, 2.0, -v3
	v_sub_f32_e32 v9, v24, v22
	v_sub_f32_e32 v13, v26, v16
	;; [unrolled: 1-line block ×4, first 2 shown]
	s_waitcnt vmcnt(1)
	v_sub_f32_e32 v49, v40, v44
	s_waitcnt vmcnt(0)
	v_sub_f32_e32 v51, v42, v18
	v_pk_add_f32 v[0:1], v[28:29], v[0:1] neg_lo:[0,1] neg_hi:[0,1]
	v_add_u32_e32 v61, 56, v4
	v_add_u32_e32 v60, 0x70, v4
	;; [unrolled: 1-line block ×7, first 2 shown]
	v_fma_f32 v8, v24, 2.0, -v9
	v_fma_f32 v12, v26, 2.0, -v13
	;; [unrolled: 1-line block ×7, first 2 shown]
	v_lshl_add_u32 v24, v4, 3, 0
	v_lshl_add_u32 v26, v61, 3, 0
	;; [unrolled: 1-line block ×7, first 2 shown]
	v_cmp_gt_u32_e32 vcc, 28, v4
	v_lshl_add_u32 v34, v18, 3, 0
	ds_write_b64 v24, v[2:3]
	ds_write_b64 v26, v[8:9]
	;; [unrolled: 1-line block ×7, first 2 shown]
	s_and_saveexec_b64 s[2:3], vcc
	s_cbranch_execz .LBB0_15
; %bb.14:
	v_mov_b32_e32 v11, v0
	ds_write_b64 v34, v[10:11]
.LBB0_15:
	s_or_b64 exec, exec, s[2:3]
	v_lshl_add_u32 v5, v4, 2, 0
	v_add_u32_e32 v2, 0x400, v5
	s_waitcnt lgkmcnt(0)
	; wave barrier
	s_waitcnt lgkmcnt(0)
	ds_read2_b32 v[14:15], v2 offset0:80 offset1:164
	v_add_u32_e32 v2, 0x600, v5
	ds_read2_b32 v[46:47], v5 offset1:56
	ds_read2_b32 v[12:13], v2 offset0:92 offset1:148
	ds_read2_b32 v[48:49], v5 offset0:112 offset1:168
	v_add_u32_e32 v2, 0x800, v5
	v_add_u32_e32 v3, 0x200, v5
	ds_read2_b32 v[8:9], v2 offset0:76 offset1:132
	ds_read2_b32 v[50:51], v3 offset0:96 offset1:152
	;; [unrolled: 1-line block ×3, first 2 shown]
	s_and_saveexec_b64 s[2:3], vcc
	s_cbranch_execz .LBB0_17
; %bb.16:
	ds_read_b32 v10, v5 offset:1568
	ds_read_b32 v0, v5 offset:3248
.LBB0_17:
	s_or_b64 exec, exec, s[2:3]
	v_sub_f32_e32 v55, v21, v37
	v_sub_f32_e32 v45, v41, v45
	v_fma_f32 v54, v21, 2.0, -v55
	v_sub_f32_e32 v57, v25, v23
	v_sub_f32_e32 v59, v27, v17
	;; [unrolled: 1-line block ×4, first 2 shown]
	v_fma_f32 v44, v41, 2.0, -v45
	v_sub_f32_e32 v41, v43, v19
	v_fma_f32 v16, v29, 2.0, -v1
	v_fma_f32 v56, v25, 2.0, -v57
	;; [unrolled: 1-line block ×6, first 2 shown]
	s_waitcnt lgkmcnt(0)
	; wave barrier
	s_waitcnt lgkmcnt(0)
	ds_write_b64 v24, v[54:55]
	ds_write_b64 v26, v[56:57]
	;; [unrolled: 1-line block ×7, first 2 shown]
	s_and_saveexec_b64 s[2:3], vcc
	s_cbranch_execz .LBB0_19
; %bb.18:
	v_mov_b32_e32 v17, v1
	ds_write_b64 v34, v[16:17]
.LBB0_19:
	s_or_b64 exec, exec, s[2:3]
	v_add_u32_e32 v11, 0x400, v5
	s_waitcnt lgkmcnt(0)
	; wave barrier
	s_waitcnt lgkmcnt(0)
	ds_read2_b32 v[24:25], v11 offset0:80 offset1:164
	v_add_u32_e32 v11, 0x600, v5
	ds_read2_b32 v[28:29], v5 offset1:56
	ds_read2_b32 v[42:43], v11 offset0:92 offset1:148
	ds_read2_b32 v[32:33], v5 offset0:112 offset1:168
	v_add_u32_e32 v11, 0x800, v5
	v_add_u32_e32 v17, 0x200, v5
	ds_read2_b32 v[40:41], v11 offset0:76 offset1:132
	ds_read2_b32 v[34:35], v17 offset0:96 offset1:152
	;; [unrolled: 1-line block ×3, first 2 shown]
	v_lshlrev_b32_e32 v54, 1, v4
	v_lshlrev_b32_e32 v55, 1, v61
	;; [unrolled: 1-line block ×7, first 2 shown]
	s_and_saveexec_b64 s[2:3], vcc
	s_cbranch_execz .LBB0_21
; %bb.20:
	ds_read_b32 v16, v5 offset:1568
	ds_read_b32 v1, v5 offset:3248
.LBB0_21:
	s_or_b64 exec, exec, s[2:3]
	v_and_b32_e32 v17, 1, v4
	v_lshlrev_b32_e32 v11, 3, v17
	global_load_dwordx2 v[44:45], v11, s[4:5]
	s_movk_i32 s2, 0x7c
	s_movk_i32 s8, 0x2fc
	;; [unrolled: 1-line block ×5, first 2 shown]
	v_and_or_b32 v11, v54, s2, v17
	v_and_or_b32 v23, v62, s8, v17
	;; [unrolled: 1-line block ×7, first 2 shown]
	v_lshl_add_u32 v64, v11, 2, 0
	v_lshl_add_u32 v69, v23, 2, 0
	;; [unrolled: 1-line block ×7, first 2 shown]
	s_waitcnt lgkmcnt(0)
	; wave barrier
	s_waitcnt vmcnt(0) lgkmcnt(0)
	v_mul_f32_e32 v11, v25, v45
	v_mul_f32_e32 v23, v38, v45
	;; [unrolled: 1-line block ×8, first 2 shown]
	v_fmac_f32_e32 v11, v15, v44
	v_fmac_f32_e32 v23, v2, v44
	v_fmac_f32_e32 v19, v12, v44
	v_fmac_f32_e32 v20, v13, v44
	v_fmac_f32_e32 v21, v8, v44
	v_fmac_f32_e32 v22, v9, v44
	v_fmac_f32_e32 v26, v3, v44
	v_fmac_f32_e32 v27, v0, v44
	v_sub_f32_e32 v11, v46, v11
	v_sub_f32_e32 v23, v51, v23
	;; [unrolled: 1-line block ×8, first 2 shown]
	v_fma_f32 v27, v46, 2.0, -v11
	v_fma_f32 v46, v51, 2.0, -v23
	;; [unrolled: 1-line block ×8, first 2 shown]
	ds_write2_b32 v64, v27, v11 offset1:2
	ds_write2_b32 v65, v30, v19 offset1:2
	;; [unrolled: 1-line block ×7, first 2 shown]
	v_lshlrev_b32_e32 v46, 1, v18
	s_and_saveexec_b64 s[2:3], vcc
	s_cbranch_execz .LBB0_23
; %bb.22:
	s_movk_i32 s6, 0x37c
	v_and_or_b32 v10, v46, s6, v17
	v_lshl_add_u32 v10, v10, 2, 0
	ds_write2_b32 v10, v47, v63 offset1:2
.LBB0_23:
	s_or_b64 exec, exec, s[2:3]
	v_add_u32_e32 v10, 0x400, v5
	s_waitcnt lgkmcnt(0)
	; wave barrier
	s_waitcnt lgkmcnt(0)
	ds_read2_b32 v[22:23], v10 offset0:80 offset1:164
	v_add_u32_e32 v10, 0x600, v5
	ds_read2_b32 v[26:27], v5 offset1:56
	ds_read2_b32 v[20:21], v10 offset0:92 offset1:148
	ds_read2_b32 v[30:31], v5 offset0:112 offset1:168
	v_add_u32_e32 v10, 0x800, v5
	v_add_u32_e32 v11, 0x200, v5
	ds_read2_b32 v[18:19], v10 offset0:76 offset1:132
	ds_read2_b32 v[36:37], v11 offset0:96 offset1:152
	;; [unrolled: 1-line block ×3, first 2 shown]
	s_and_saveexec_b64 s[2:3], vcc
	s_cbranch_execz .LBB0_25
; %bb.24:
	ds_read_b32 v47, v5 offset:1568
	ds_read_b32 v63, v5 offset:3248
.LBB0_25:
	s_or_b64 exec, exec, s[2:3]
	v_mul_f32_e32 v12, v12, v45
	v_mul_f32_e32 v14, v15, v45
	v_fma_f32 v12, v42, v44, -v12
	v_mul_f32_e32 v13, v13, v45
	v_mul_f32_e32 v9, v9, v45
	;; [unrolled: 1-line block ×3, first 2 shown]
	v_fma_f32 v14, v25, v44, -v14
	v_fma_f32 v13, v43, v44, -v13
	v_mul_f32_e32 v8, v8, v45
	v_fma_f32 v9, v41, v44, -v9
	v_mul_f32_e32 v2, v2, v45
	v_mul_f32_e32 v3, v3, v45
	v_fma_f32 v0, v1, v44, -v0
	v_sub_f32_e32 v12, v29, v12
	v_fma_f32 v8, v40, v44, -v8
	v_fma_f32 v2, v38, v44, -v2
	;; [unrolled: 1-line block ×3, first 2 shown]
	v_sub_f32_e32 v1, v28, v14
	v_fma_f32 v15, v29, 2.0, -v12
	v_sub_f32_e32 v13, v32, v13
	v_sub_f32_e32 v29, v34, v9
	;; [unrolled: 1-line block ×3, first 2 shown]
	v_fma_f32 v14, v28, 2.0, -v1
	v_fma_f32 v25, v32, 2.0, -v13
	v_sub_f32_e32 v8, v33, v8
	v_fma_f32 v32, v34, 2.0, -v29
	v_sub_f32_e32 v2, v35, v2
	v_sub_f32_e32 v3, v24, v3
	v_fma_f32 v34, v16, 2.0, -v9
	v_fma_f32 v28, v33, 2.0, -v8
	;; [unrolled: 1-line block ×4, first 2 shown]
	s_waitcnt lgkmcnt(0)
	; wave barrier
	s_waitcnt lgkmcnt(0)
	ds_write2_b32 v64, v14, v1 offset1:2
	ds_write2_b32 v65, v15, v12 offset1:2
	;; [unrolled: 1-line block ×7, first 2 shown]
	s_and_saveexec_b64 s[2:3], vcc
	s_cbranch_execz .LBB0_27
; %bb.26:
	s_movk_i32 s6, 0x37c
	v_and_or_b32 v0, v46, s6, v17
	v_lshl_add_u32 v0, v0, 2, 0
	ds_write2_b32 v0, v34, v9 offset1:2
.LBB0_27:
	s_or_b64 exec, exec, s[2:3]
	v_add_u32_e32 v0, 0x400, v5
	v_add_u32_e32 v8, 0x600, v5
	s_waitcnt lgkmcnt(0)
	; wave barrier
	s_waitcnt lgkmcnt(0)
	ds_read2_b32 v[2:3], v5 offset1:56
	ds_read2_b32 v[0:1], v0 offset0:80 offset1:164
	ds_read2_b32 v[28:29], v8 offset0:92 offset1:148
	;; [unrolled: 1-line block ×3, first 2 shown]
	v_add_u32_e32 v8, 0x800, v5
	v_add_u32_e32 v14, 0x200, v5
	ds_read2_b32 v[24:25], v8 offset0:76 offset1:132
	ds_read2_b32 v[14:15], v14 offset0:96 offset1:152
	;; [unrolled: 1-line block ×3, first 2 shown]
	s_and_saveexec_b64 s[2:3], vcc
	s_cbranch_execz .LBB0_29
; %bb.28:
	ds_read_b32 v34, v5 offset:1568
	ds_read_b32 v9, v5 offset:3248
.LBB0_29:
	s_or_b64 exec, exec, s[2:3]
	v_and_b32_e32 v35, 3, v4
	v_lshlrev_b32_e32 v8, 3, v35
	global_load_dwordx2 v[32:33], v8, s[4:5] offset:16
	s_movk_i32 s2, 0x78
	v_and_or_b32 v8, v54, s2, v35
	s_movk_i32 s3, 0xf8
	v_lshl_add_u32 v38, v8, 2, 0
	s_movk_i32 s6, 0x1f8
	s_movk_i32 s7, 0x3f8
	s_movk_i32 s8, 0x2f8
	v_and_or_b32 v39, v55, s3, v35
	v_and_or_b32 v40, v56, s6, v35
	v_and_or_b32 v41, v58, s6, v35
	v_and_or_b32 v42, v59, s7, v35
	v_and_or_b32 v43, v62, s8, v35
	v_and_or_b32 v44, v57, s7, v35
	v_lshl_add_u32 v39, v39, 2, 0
	v_lshl_add_u32 v40, v40, 2, 0
	;; [unrolled: 1-line block ×6, first 2 shown]
	s_waitcnt lgkmcnt(0)
	; wave barrier
	s_waitcnt vmcnt(0) lgkmcnt(0)
	v_mul_f32_e32 v8, v1, v33
	v_mul_f32_e32 v45, v28, v33
	;; [unrolled: 1-line block ×8, first 2 shown]
	v_fmac_f32_e32 v8, v23, v32
	v_fmac_f32_e32 v45, v20, v32
	;; [unrolled: 1-line block ×8, first 2 shown]
	v_sub_f32_e32 v56, v26, v8
	v_sub_f32_e32 v45, v27, v45
	;; [unrolled: 1-line block ×8, first 2 shown]
	v_fma_f32 v26, v26, 2.0, -v56
	v_fma_f32 v27, v27, 2.0, -v45
	;; [unrolled: 1-line block ×7, first 2 shown]
	ds_write2_b32 v38, v26, v56 offset1:4
	ds_write2_b32 v39, v27, v45 offset1:4
	;; [unrolled: 1-line block ×7, first 2 shown]
	s_and_saveexec_b64 s[2:3], vcc
	s_cbranch_execz .LBB0_31
; %bb.30:
	s_movk_i32 s6, 0x378
	v_and_or_b32 v22, v46, s6, v35
	v_lshl_add_u32 v22, v22, 2, 0
	v_fma_f32 v26, v47, 2.0, -v8
	ds_write2_b32 v22, v26, v8 offset1:4
.LBB0_31:
	s_or_b64 exec, exec, s[2:3]
	v_mul_f32_e32 v10, v10, v33
	v_mul_f32_e32 v22, v23, v33
	;; [unrolled: 1-line block ×6, first 2 shown]
	v_fma_f32 v10, v16, v32, -v10
	v_mul_f32_e32 v11, v11, v33
	v_mul_f32_e32 v16, v63, v33
	v_fma_f32 v1, v1, v32, -v22
	v_fma_f32 v20, v28, v32, -v20
	;; [unrolled: 1-line block ×7, first 2 shown]
	v_sub_f32_e32 v23, v2, v1
	v_sub_f32_e32 v25, v3, v20
	;; [unrolled: 1-line block ×8, first 2 shown]
	v_add_u32_e32 v11, 0x200, v5
	v_add_u32_e32 v9, 0x800, v5
	v_add_u32_e32 v32, 0x400, v5
	v_fma_f32 v24, v2, 2.0, -v23
	v_fma_f32 v26, v3, 2.0, -v25
	;; [unrolled: 1-line block ×7, first 2 shown]
	s_waitcnt lgkmcnt(0)
	; wave barrier
	s_waitcnt lgkmcnt(0)
	ds_read2_b32 v[12:13], v5 offset1:56
	ds_read2_b32 v[0:1], v11 offset0:96 offset1:152
	ds_read2_b32 v[20:21], v9 offset0:48 offset1:104
	;; [unrolled: 1-line block ×6, first 2 shown]
	ds_read_b32 v22, v5 offset:3136
	s_waitcnt lgkmcnt(0)
	; wave barrier
	s_waitcnt lgkmcnt(0)
	ds_write2_b32 v38, v24, v23 offset1:4
	ds_write2_b32 v39, v26, v25 offset1:4
	;; [unrolled: 1-line block ×7, first 2 shown]
	s_and_saveexec_b64 s[2:3], vcc
	s_cbranch_execz .LBB0_33
; %bb.32:
	s_movk_i32 s6, 0x378
	v_and_or_b32 v24, v46, s6, v35
	v_fma_f32 v23, v34, 2.0, -v10
	v_lshl_add_u32 v24, v24, 2, 0
	ds_write2_b32 v24, v23, v10 offset1:4
.LBB0_33:
	s_or_b64 exec, exec, s[2:3]
	v_and_b32_e32 v23, 7, v4
	v_lshlrev_b32_e32 v24, 4, v23
	s_waitcnt lgkmcnt(0)
	; wave barrier
	s_waitcnt lgkmcnt(0)
	global_load_dwordx4 v[24:27], v24, s[4:5] offset:48
	ds_read2_b32 v[28:29], v5 offset1:56
	ds_read2_b32 v[30:31], v11 offset0:96 offset1:152
	ds_read2_b32 v[34:35], v9 offset0:48 offset1:104
	;; [unrolled: 1-line block ×6, first 2 shown]
	ds_read_b32 v33, v5 offset:3136
	s_waitcnt lgkmcnt(0)
	; wave barrier
	s_waitcnt lgkmcnt(0)
	s_movk_i32 s2, 0xab
	v_cmp_lt_u32_e32 vcc, 7, v4
	s_waitcnt vmcnt(0)
	v_mul_f32_e32 v48, v36, v25
	v_mul_f32_e32 v50, v35, v27
	;; [unrolled: 1-line block ×6, first 2 shown]
	v_fmac_f32_e32 v48, v18, v24
	v_fmac_f32_e32 v50, v21, v26
	v_mul_f32_e32 v49, v18, v25
	v_mul_f32_e32 v51, v21, v27
	;; [unrolled: 1-line block ×8, first 2 shown]
	v_fmac_f32_e32 v46, v20, v26
	v_fma_f32 v20, v34, v26, -v47
	v_fmac_f32_e32 v54, v19, v24
	v_fma_f32 v19, v37, v24, -v55
	v_add_f32_e32 v34, v48, v50
	v_mul_f32_e32 v44, v31, v25
	v_mul_f32_e32 v45, v1, v25
	v_mul_f32_e32 v58, v42, v25
	v_mul_f32_e32 v59, v14, v25
	v_fma_f32 v18, v36, v24, -v49
	v_fmac_f32_e32 v56, v16, v26
	v_fma_f32 v16, v40, v26, -v57
	v_fmac_f32_e32 v65, v22, v26
	v_fma_f32 v22, v33, v26, -v27
	v_add_f32_e32 v33, v13, v48
	v_fmac_f32_e32 v13, -0.5, v34
	v_add_f32_e32 v34, v38, v19
	v_mul_f32_e32 v64, v43, v25
	v_mul_f32_e32 v25, v15, v25
	v_fmac_f32_e32 v44, v1, v24
	v_fma_f32 v1, v31, v24, -v45
	v_fma_f32 v21, v35, v26, -v51
	v_fmac_f32_e32 v58, v14, v24
	v_fma_f32 v14, v42, v24, -v59
	v_fmac_f32_e32 v62, v17, v26
	v_add_f32_e32 v36, v29, v18
	v_sub_f32_e32 v42, v19, v16
	v_add_f32_e32 v34, v34, v16
	v_add_f32_e32 v16, v19, v16
	v_fma_f32 v17, v41, v26, -v63
	v_fmac_f32_e32 v64, v15, v24
	v_fma_f32 v15, v43, v24, -v25
	v_add_f32_e32 v25, v44, v46
	v_sub_f32_e32 v26, v1, v20
	v_add_f32_e32 v27, v28, v1
	v_add_f32_e32 v1, v1, v20
	v_sub_f32_e32 v35, v18, v21
	v_add_f32_e32 v18, v18, v21
	v_add_f32_e32 v21, v36, v21
	v_fma_f32 v19, -0.5, v16, v38
	v_sub_f32_e32 v16, v54, v56
	v_add_f32_e32 v36, v58, v62
	v_add_f32_e32 v24, v12, v44
	v_sub_f32_e32 v31, v44, v46
	v_sub_f32_e32 v37, v48, v50
	v_fma_f32 v12, -0.5, v25, v12
	v_fma_f32 v1, -0.5, v1, v28
	v_fmac_f32_e32 v29, -0.5, v18
	v_fmamk_f32 v28, v35, 0xbf5db3d7, v13
	v_fmac_f32_e32 v13, 0x3f5db3d7, v35
	v_fmamk_f32 v35, v16, 0x3f5db3d7, v19
	v_fmac_f32_e32 v19, 0xbf5db3d7, v16
	v_add_f32_e32 v16, v3, v58
	v_fmac_f32_e32 v3, -0.5, v36
	v_sub_f32_e32 v36, v14, v17
	v_add_f32_e32 v20, v27, v20
	v_fmamk_f32 v27, v26, 0xbf5db3d7, v12
	v_fmac_f32_e32 v12, 0x3f5db3d7, v26
	v_fmamk_f32 v26, v31, 0x3f5db3d7, v1
	v_fmac_f32_e32 v1, 0xbf5db3d7, v31
	;; [unrolled: 2-line block ×4, first 2 shown]
	v_add_f32_e32 v36, v39, v14
	v_add_f32_e32 v14, v14, v17
	;; [unrolled: 1-line block ×3, first 2 shown]
	v_fmac_f32_e32 v39, -0.5, v14
	v_sub_f32_e32 v14, v58, v62
	v_add_f32_e32 v17, v64, v65
	v_add_f32_e32 v40, v2, v54
	v_fmamk_f32 v38, v14, 0x3f5db3d7, v39
	v_fmac_f32_e32 v39, 0xbf5db3d7, v14
	v_add_f32_e32 v14, v0, v64
	v_fmac_f32_e32 v0, -0.5, v17
	v_sub_f32_e32 v17, v15, v22
	v_add_f32_e32 v18, v40, v56
	v_fmamk_f32 v40, v17, 0xbf5db3d7, v0
	v_fmac_f32_e32 v0, 0x3f5db3d7, v17
	v_add_f32_e32 v17, v30, v15
	v_add_f32_e32 v15, v15, v22
	v_add_f32_e32 v41, v54, v56
	v_fmac_f32_e32 v30, -0.5, v15
	v_sub_f32_e32 v15, v64, v65
	v_fma_f32 v2, -0.5, v41, v2
	v_add_f32_e32 v41, v17, v22
	v_fmamk_f32 v22, v15, 0x3f5db3d7, v30
	v_fmac_f32_e32 v30, 0xbf5db3d7, v15
	v_lshrrev_b32_e32 v15, 3, v4
	v_mul_u32_u24_e32 v15, 24, v15
	v_or_b32_e32 v15, v15, v23
	v_add_f32_e32 v24, v24, v46
	v_add_f32_e32 v25, v33, v50
	v_fmamk_f32 v33, v42, 0xbf5db3d7, v2
	v_fmac_f32_e32 v2, 0x3f5db3d7, v42
	v_lshl_add_u32 v42, v15, 2, 0
	ds_write2_b32 v42, v24, v27 offset1:8
	ds_write_b32 v42, v12 offset:64
	v_lshrrev_b32_e32 v12, 3, v61
	v_mul_u32_u24_e32 v12, 24, v12
	v_or_b32_e32 v12, v12, v23
	v_lshl_add_u32 v24, v12, 2, 0
	v_lshrrev_b32_e32 v12, 3, v60
	v_mul_u32_u24_e32 v12, 24, v12
	v_or_b32_e32 v12, v12, v23
	ds_write2_b32 v24, v25, v28 offset1:8
	ds_write_b32 v24, v13 offset:64
	v_lshl_add_u32 v25, v12, 2, 0
	ds_write2_b32 v25, v18, v33 offset1:8
	ds_write_b32 v25, v2 offset:64
	v_lshrrev_b32_e32 v2, 3, v53
	v_mul_u32_u24_e32 v2, 24, v2
	v_or_b32_e32 v2, v2, v23
	v_lshl_add_u32 v18, v2, 2, 0
	v_lshrrev_b32_e32 v2, 3, v52
	v_mul_u32_u24_e32 v2, 24, v2
	v_or_b32_e32 v2, v2, v23
	v_add_f32_e32 v16, v16, v62
	v_add_f32_e32 v14, v14, v65
	v_lshl_add_u32 v23, v2, 2, 0
	ds_write2_b32 v18, v16, v37 offset1:8
	ds_write_b32 v18, v3 offset:64
	ds_write2_b32 v23, v14, v40 offset1:8
	ds_write_b32 v23, v0 offset:64
	v_mul_lo_u16_sdwa v0, v4, s2 dst_sel:DWORD dst_unused:UNUSED_PAD src0_sel:BYTE_0 src1_sel:DWORD
	v_lshrrev_b16_e32 v67, 12, v0
	v_mul_lo_u16_e32 v0, 24, v67
	v_sub_u16_e32 v48, v4, v0
	v_mov_b32_e32 v0, 5
	s_waitcnt lgkmcnt(0)
	; wave barrier
	s_waitcnt lgkmcnt(0)
	ds_read2_b32 v[16:17], v5 offset1:56
	ds_read2_b32 v[14:15], v5 offset0:112 offset1:168
	ds_read2_b32 v[2:3], v32 offset0:80 offset1:136
	;; [unrolled: 1-line block ×6, first 2 shown]
	ds_read_b32 v33, v5 offset:3136
	s_waitcnt lgkmcnt(0)
	; wave barrier
	s_waitcnt lgkmcnt(0)
	ds_write2_b32 v42, v20, v26 offset1:8
	ds_write_b32 v42, v1 offset:64
	ds_write2_b32 v24, v21, v31 offset1:8
	ds_write_b32 v24, v29 offset:64
	;; [unrolled: 2-line block ×5, first 2 shown]
	v_lshlrev_b32_sdwa v1, v0, v48 dst_sel:DWORD dst_unused:UNUSED_PAD src0_sel:DWORD src1_sel:BYTE_0
	s_waitcnt lgkmcnt(0)
	; wave barrier
	s_waitcnt lgkmcnt(0)
	global_load_dwordx4 v[18:21], v1, s[4:5] offset:176
	global_load_dwordx4 v[22:25], v1, s[4:5] offset:192
	v_mul_lo_u16_sdwa v1, v61, s2 dst_sel:DWORD dst_unused:UNUSED_PAD src0_sel:BYTE_0 src1_sel:DWORD
	v_lshrrev_b16_e32 v76, 12, v1
	v_mul_lo_u16_e32 v1, 24, v76
	v_sub_u16_e32 v49, v61, v1
	v_lshlrev_b32_sdwa v1, v0, v49 dst_sel:DWORD dst_unused:UNUSED_PAD src0_sel:DWORD src1_sel:BYTE_0
	global_load_dwordx4 v[26:29], v1, s[4:5] offset:176
	global_load_dwordx4 v[34:37], v1, s[4:5] offset:192
	v_mul_lo_u16_sdwa v1, v60, s2 dst_sel:DWORD dst_unused:UNUSED_PAD src0_sel:BYTE_0 src1_sel:DWORD
	v_lshrrev_b16_e32 v77, 12, v1
	v_mul_lo_u16_e32 v1, 24, v77
	v_sub_u16_e32 v78, v60, v1
	v_lshlrev_b32_sdwa v0, v0, v78 dst_sel:DWORD dst_unused:UNUSED_PAD src0_sel:DWORD src1_sel:BYTE_0
	global_load_dwordx4 v[38:41], v0, s[4:5] offset:176
	global_load_dwordx4 v[42:45], v0, s[4:5] offset:192
	ds_read2_b32 v[0:1], v5 offset0:112 offset1:168
	ds_read2_b32 v[30:31], v32 offset0:80 offset1:136
	;; [unrolled: 1-line block ×5, first 2 shown]
	s_mov_b32 s2, 0x3e9e377a
	s_mov_b32 s3, 0x3f167918
	s_waitcnt vmcnt(5) lgkmcnt(4)
	v_mul_f32_e32 v63, v1, v19
	v_fmac_f32_e32 v63, v15, v18
	v_mul_f32_e32 v15, v15, v19
	v_fma_f32 v52, v1, v18, -v15
	v_mul_f32_e32 v1, v2, v21
	s_waitcnt vmcnt(4) lgkmcnt(2)
	v_mul_f32_e32 v65, v47, v23
	v_fma_f32 v53, v30, v20, -v1
	v_fmac_f32_e32 v65, v13, v22
	v_mul_f32_e32 v1, v13, v23
	ds_read2_b32 v[18:19], v9 offset0:48 offset1:104
	ds_read_b32 v13, v5 offset:3136
	v_fma_f32 v57, v47, v22, -v1
	s_waitcnt lgkmcnt(3)
	v_mul_f32_e32 v66, v72, v25
	v_mul_f32_e32 v1, v54, v25
	;; [unrolled: 1-line block ×3, first 2 shown]
	v_fmac_f32_e32 v66, v54, v24
	v_fma_f32 v59, v72, v24, -v1
	s_waitcnt vmcnt(1)
	v_mul_f32_e32 v24, v46, v41
	v_fmac_f32_e32 v64, v2, v20
	v_mul_f32_e32 v51, v31, v29
	v_mul_f32_e32 v2, v3, v29
	v_fmac_f32_e32 v24, v12, v40
	v_mul_f32_e32 v25, v12, v41
	s_waitcnt vmcnt(0)
	v_mul_f32_e32 v12, v33, v45
	v_mov_b32_e32 v1, 2
	v_fmac_f32_e32 v51, v3, v28
	v_fma_f32 v47, v31, v28, -v2
	v_mul_f32_e32 v2, v68, v27
	v_mul_f32_e32 v3, v46, v40
	s_waitcnt lgkmcnt(0)
	v_fma_f32 v46, v13, v44, -v12
	v_add_f32_e32 v12, v64, v65
	v_lshlrev_b32_sdwa v15, v1, v48 dst_sel:DWORD dst_unused:UNUSED_PAD src0_sel:DWORD src1_sel:BYTE_0
	v_mul_f32_e32 v56, v74, v27
	v_fma_f32 v48, v74, v26, -v2
	v_mul_f32_e32 v2, v70, v35
	v_mul_f32_e32 v30, v13, v45
	v_fma_f32 v29, -0.5, v12, v16
	v_sub_f32_e32 v12, v52, v59
	v_lshlrev_b32_sdwa v54, v1, v49 dst_sel:DWORD dst_unused:UNUSED_PAD src0_sel:DWORD src1_sel:BYTE_0
	v_fmac_f32_e32 v56, v68, v26
	v_mul_f32_e32 v58, v18, v35
	v_fma_f32 v49, v18, v34, -v2
	v_mul_f32_e32 v26, v19, v43
	v_mul_f32_e32 v31, v19, v42
	v_fmac_f32_e32 v30, v33, v44
	v_fmamk_f32 v33, v12, 0xbf737871, v29
	v_sub_f32_e32 v13, v53, v57
	v_sub_f32_e32 v18, v63, v64
	;; [unrolled: 1-line block ×3, first 2 shown]
	v_fmac_f32_e32 v29, 0x3f737871, v12
	v_fmac_f32_e32 v33, 0xbf167918, v13
	v_add_f32_e32 v18, v18, v19
	v_fmac_f32_e32 v29, 0x3f167918, v13
	v_mul_f32_e32 v62, v73, v37
	v_mul_f32_e32 v2, v55, v37
	v_fmac_f32_e32 v33, 0x3e9e377a, v18
	v_fmac_f32_e32 v29, 0x3e9e377a, v18
	v_add_f32_e32 v18, v63, v66
	v_fmac_f32_e32 v62, v55, v36
	v_fma_f32 v50, v73, v36, -v2
	v_fma_f32 v36, -0.5, v18, v16
	v_fmac_f32_e32 v58, v70, v34
	v_fmamk_f32 v37, v13, 0x3f737871, v36
	v_fmac_f32_e32 v36, 0xbf737871, v13
	v_fmac_f32_e32 v37, 0xbf167918, v12
	v_sub_f32_e32 v18, v64, v63
	v_sub_f32_e32 v19, v65, v66
	v_fmac_f32_e32 v36, 0x3f167918, v12
	v_add_f32_e32 v12, v51, v58
	v_lshlrev_b32_sdwa v28, v1, v78 dst_sel:DWORD dst_unused:UNUSED_PAD src0_sel:DWORD src1_sel:BYTE_0
	v_mul_f32_e32 v2, v75, v39
	v_mul_f32_e32 v1, v69, v39
	v_add_f32_e32 v18, v18, v19
	v_fma_f32 v39, -0.5, v12, v17
	v_sub_f32_e32 v12, v48, v50
	v_fmac_f32_e32 v37, 0x3e9e377a, v18
	v_fmac_f32_e32 v36, 0x3e9e377a, v18
	v_fmamk_f32 v40, v12, 0xbf737871, v39
	v_sub_f32_e32 v13, v47, v49
	v_sub_f32_e32 v18, v56, v51
	;; [unrolled: 1-line block ×3, first 2 shown]
	v_fmac_f32_e32 v39, 0x3f737871, v12
	v_fmac_f32_e32 v40, 0xbf167918, v13
	v_add_f32_e32 v18, v18, v19
	v_fmac_f32_e32 v39, 0x3f167918, v13
	v_fmac_f32_e32 v40, 0x3e9e377a, v18
	;; [unrolled: 1-line block ×3, first 2 shown]
	v_add_f32_e32 v18, v56, v62
	v_fmac_f32_e32 v2, v69, v38
	v_fma_f32 v1, v75, v38, -v1
	v_add_f32_e32 v38, v17, v56
	v_fmac_f32_e32 v17, -0.5, v18
	v_fmac_f32_e32 v26, v71, v42
	v_mul_f32_e32 v27, v71, v43
	v_fmamk_f32 v41, v13, 0x3f737871, v17
	v_fmac_f32_e32 v17, 0xbf737871, v13
	v_fmac_f32_e32 v41, 0xbf167918, v12
	;; [unrolled: 1-line block ×3, first 2 shown]
	v_add_f32_e32 v12, v24, v26
	v_pk_add_f32 v[20:21], v[2:3], v[24:25] neg_lo:[0,1] neg_hi:[0,1]
	v_pk_add_f32 v[22:23], v[30:31], v[26:27] neg_lo:[0,1] neg_hi:[0,1]
	v_sub_f32_e32 v18, v51, v56
	v_sub_f32_e32 v19, v58, v62
	v_fma_f32 v34, -0.5, v12, v14
	v_pk_add_f32 v[44:45], v[20:21], v[22:23]
	v_pk_add_f32 v[12:13], v[20:21], v[22:23] neg_lo:[0,1] neg_hi:[0,1]
	v_add_f32_e32 v18, v18, v19
	v_sub_f32_e32 v35, v1, v46
	v_mov_b32_e32 v12, v44
	v_fmac_f32_e32 v41, 0x3e9e377a, v18
	v_fmac_f32_e32 v17, 0x3e9e377a, v18
	v_fmamk_f32 v43, v35, 0xbf737871, v34
	v_pk_mul_f32 v[18:19], v[12:13], s[2:3]
	v_fmac_f32_e32 v34, 0x3f737871, v35
	v_sub_f32_e32 v3, v43, v19
	v_add_f32_e32 v20, v18, v3
	v_add_f32_e32 v3, v19, v34
	;; [unrolled: 1-line block ×5, first 2 shown]
	v_fmac_f32_e32 v14, -0.5, v3
	v_fmamk_f32 v18, v13, 0x3f737871, v14
	v_fmac_f32_e32 v14, 0xbf737871, v13
	v_sub_f32_e32 v3, v24, v2
	v_sub_f32_e32 v13, v26, v30
	v_fmac_f32_e32 v18, 0xbf167918, v35
	v_add_f32_e32 v3, v3, v13
	v_fmac_f32_e32 v14, 0x3f167918, v35
	v_fmac_f32_e32 v18, 0x3e9e377a, v3
	;; [unrolled: 1-line block ×3, first 2 shown]
	v_add_f32_e32 v3, v16, v63
	v_add_f32_e32 v3, v3, v64
	;; [unrolled: 1-line block ×10, first 2 shown]
	v_mul_u32_u24_e32 v3, 0x1e0, v67
	v_add3_u32 v3, 0, v3, v15
	ds_read2_b32 v[34:35], v5 offset1:56
	s_waitcnt lgkmcnt(0)
	; wave barrier
	s_waitcnt lgkmcnt(0)
	ds_write2_b32 v3, v13, v33 offset1:24
	ds_write2_b32 v3, v37, v36 offset0:48 offset1:72
	ds_write_b32 v3, v29 offset:384
	v_mul_u32_u24_e32 v13, 0x1e0, v76
	v_add3_u32 v25, 0, v13, v54
	v_mul_u32_u24_e32 v13, 0x1e0, v77
	v_add3_u32 v27, 0, v13, v28
	ds_write2_b32 v25, v16, v40 offset1:24
	ds_write2_b32 v25, v41, v17 offset0:48 offset1:72
	ds_write_b32 v25, v39 offset:384
	ds_write2_b32 v27, v19, v20 offset1:24
	ds_write2_b32 v27, v18, v14 offset0:48 offset1:72
	ds_write_b32 v27, v12 offset:384
	s_waitcnt lgkmcnt(0)
	; wave barrier
	s_waitcnt lgkmcnt(0)
	ds_read2_b32 v[38:39], v5 offset1:56
	ds_read2_b32 v[28:29], v5 offset0:120 offset1:176
	ds_read2_b32 v[42:43], v11 offset0:112 offset1:168
	;; [unrolled: 1-line block ×3, first 2 shown]
	v_add_u32_e32 v11, 0x600, v5
	ds_read2_b32 v[32:33], v11 offset0:96 offset1:152
	ds_read2_b32 v[54:55], v9 offset0:88 offset1:144
	v_add_u32_e32 v9, 0xa00, v5
	ds_read2_b32 v[40:41], v9 offset0:80 offset1:136
	v_cmp_gt_u32_e64 s[2:3], 8, v4
                                        ; implicit-def: $vgpr14_vgpr15
	s_and_saveexec_b64 s[6:7], vcc
	s_xor_b64 s[6:7], exec, s[6:7]
; %bb.34:
	v_mov_b64_e32 v[14:15], v[8:9]
; %bb.35:
	s_or_saveexec_b64 s[6:7], s[6:7]
                                        ; implicit-def: $vgpr18
                                        ; implicit-def: $vgpr17
                                        ; implicit-def: $vgpr20
	s_xor_b64 exec, exec, s[6:7]
	s_cbranch_execz .LBB0_37
; %bb.36:
	v_add_u32_e32 v8, 0x400, v5
	ds_read2_b32 v[12:13], v5 offset0:112 offset1:232
	ds_read2_b32 v[18:19], v8 offset0:96 offset1:216
	v_add_u32_e32 v8, 0x800, v5
	ds_read2_b32 v[16:17], v8 offset0:80 offset1:200
	ds_read_b32 v20, v5 offset:3328
	s_waitcnt lgkmcnt(3)
	v_mov_b32_e32 v14, v13
	v_mov_b32_e32 v8, v13
.LBB0_37:
	s_or_b64 exec, exec, s[6:7]
	v_add_f32_e32 v11, v53, v57
	v_fma_f32 v11, -0.5, v11, v34
	v_sub_f32_e32 v13, v63, v66
	v_fmamk_f32 v15, v13, 0x3f737871, v11
	v_sub_f32_e32 v22, v64, v65
	v_sub_f32_e32 v31, v52, v53
	;; [unrolled: 1-line block ×3, first 2 shown]
	v_fmac_f32_e32 v11, 0xbf737871, v13
	v_fmac_f32_e32 v15, 0x3f167918, v22
	v_add_f32_e32 v31, v31, v44
	v_fmac_f32_e32 v11, 0xbf167918, v22
	v_fmac_f32_e32 v15, 0x3e9e377a, v31
	;; [unrolled: 1-line block ×3, first 2 shown]
	v_add_f32_e32 v31, v52, v59
	v_fma_f32 v31, -0.5, v31, v34
	v_add_f32_e32 v9, v34, v52
	v_fmamk_f32 v34, v22, 0xbf737871, v31
	v_sub_f32_e32 v44, v53, v52
	v_sub_f32_e32 v52, v57, v59
	v_fmac_f32_e32 v31, 0x3f737871, v22
	v_fmac_f32_e32 v34, 0x3f167918, v13
	v_add_f32_e32 v44, v44, v52
	v_fmac_f32_e32 v31, 0xbf167918, v13
	v_add_f32_e32 v22, v47, v49
	v_fmac_f32_e32 v34, 0x3e9e377a, v44
	v_fmac_f32_e32 v31, 0x3e9e377a, v44
	v_fma_f32 v44, -0.5, v22, v35
	v_sub_f32_e32 v22, v56, v62
	v_add_f32_e32 v9, v9, v53
	v_fmamk_f32 v52, v22, 0x3f737871, v44
	v_sub_f32_e32 v51, v51, v58
	v_sub_f32_e32 v53, v48, v47
	;; [unrolled: 1-line block ×3, first 2 shown]
	v_fmac_f32_e32 v44, 0xbf737871, v22
	v_fmac_f32_e32 v52, 0x3f167918, v51
	v_add_f32_e32 v53, v53, v56
	v_fmac_f32_e32 v44, 0xbf167918, v51
	v_fmac_f32_e32 v52, 0x3e9e377a, v53
	;; [unrolled: 1-line block ×3, first 2 shown]
	v_add_f32_e32 v53, v48, v50
	v_add_f32_e32 v13, v35, v48
	v_fmac_f32_e32 v35, -0.5, v53
	v_fmamk_f32 v53, v51, 0xbf737871, v35
	v_fmac_f32_e32 v35, 0x3f737871, v51
	v_fmac_f32_e32 v53, 0x3f167918, v22
	;; [unrolled: 1-line block ×3, first 2 shown]
	v_add_f32_e32 v22, v0, v1
	v_add_f32_e32 v13, v13, v47
	v_sub_f32_e32 v47, v47, v48
	v_sub_f32_e32 v48, v49, v50
	v_add_f32_e32 v22, v22, v21
	v_add_f32_e32 v47, v47, v48
	;; [unrolled: 1-line block ×3, first 2 shown]
	v_fmac_f32_e32 v53, 0x3e9e377a, v47
	v_fmac_f32_e32 v35, 0x3e9e377a, v47
	v_add_f32_e32 v47, v22, v46
	v_fma_f32 v22, -0.5, v45, v0
	v_sub_f32_e32 v2, v2, v30
	v_fmamk_f32 v30, v2, 0x3f737871, v22
	v_sub_f32_e32 v24, v24, v26
	v_sub_f32_e32 v26, v1, v21
	;; [unrolled: 1-line block ×3, first 2 shown]
	v_fmac_f32_e32 v22, 0xbf737871, v2
	v_fmac_f32_e32 v30, 0x3f167918, v24
	v_add_f32_e32 v26, v26, v45
	v_fmac_f32_e32 v22, 0xbf167918, v24
	v_fmac_f32_e32 v30, 0x3e9e377a, v26
	v_fmac_f32_e32 v22, 0x3e9e377a, v26
	v_add_f32_e32 v26, v1, v46
	v_fmac_f32_e32 v0, -0.5, v26
	v_fmamk_f32 v26, v24, 0xbf737871, v0
	v_sub_f32_e32 v1, v21, v1
	v_sub_f32_e32 v21, v23, v46
	v_fmac_f32_e32 v0, 0x3f737871, v24
	v_add_f32_e32 v9, v9, v57
	v_add_f32_e32 v1, v1, v21
	v_fmac_f32_e32 v0, 0xbf167918, v2
	v_add_f32_e32 v9, v9, v59
	v_add_f32_e32 v13, v13, v49
	v_fmac_f32_e32 v26, 0x3f167918, v2
	v_fmac_f32_e32 v0, 0x3e9e377a, v1
	v_add_f32_e32 v13, v13, v50
	v_fmac_f32_e32 v26, 0x3e9e377a, v1
	s_waitcnt lgkmcnt(0)
	; wave barrier
	s_waitcnt lgkmcnt(0)
	ds_write2_b32 v3, v9, v15 offset1:24
	ds_write2_b32 v3, v34, v31 offset0:48 offset1:72
	ds_write_b32 v3, v11 offset:384
	ds_write2_b32 v25, v13, v52 offset1:24
	ds_write2_b32 v25, v53, v35 offset0:48 offset1:72
	ds_write_b32 v25, v44 offset:384
	;; [unrolled: 3-line block ×3, first 2 shown]
	v_add_u32_e32 v0, 0x200, v5
	s_waitcnt lgkmcnt(0)
	; wave barrier
	s_waitcnt lgkmcnt(0)
	ds_read2_b32 v[44:45], v5 offset1:56
	ds_read2_b32 v[46:47], v5 offset0:120 offset1:176
	ds_read2_b32 v[58:59], v0 offset0:112 offset1:168
	v_add_u32_e32 v0, 0x400, v5
	ds_read2_b32 v[52:53], v0 offset0:104 offset1:160
	v_add_u32_e32 v0, 0x600, v5
	;; [unrolled: 2-line block ×4, first 2 shown]
	ds_read2_b32 v[50:51], v0 offset0:80 offset1:136
                                        ; implicit-def: $vgpr24_vgpr25
	s_and_saveexec_b64 s[6:7], vcc
	s_xor_b64 s[6:7], exec, s[6:7]
                                        ; implicit-def: $vgpr26
                                        ; implicit-def: $vgpr35
; %bb.38:
	v_mov_b64_e32 v[24:25], v[10:11]
                                        ; implicit-def: $vgpr5
; %bb.39:
	s_or_saveexec_b64 s[6:7], s[6:7]
                                        ; implicit-def: $vgpr34
                                        ; implicit-def: $vgpr27
                                        ; implicit-def: $vgpr30
	s_xor_b64 exec, exec, s[6:7]
	s_cbranch_execz .LBB0_41
; %bb.40:
	v_add_u32_e32 v0, 0x400, v5
	ds_read2_b32 v[22:23], v5 offset0:112 offset1:232
	ds_read2_b32 v[34:35], v0 offset0:96 offset1:216
	v_add_u32_e32 v0, 0x800, v5
	ds_read2_b32 v[26:27], v0 offset0:80 offset1:200
	ds_read_b32 v30, v5 offset:3328
	s_waitcnt lgkmcnt(3)
	v_mov_b32_e32 v24, v23
	v_mov_b32_e32 v10, v23
	s_or_b64 exec, exec, s[6:7]
	s_and_saveexec_b64 s[6:7], s[0:1]
	s_cbranch_execz .LBB0_44
	s_branch .LBB0_42
.LBB0_41:
	s_or_b64 exec, exec, s[6:7]
	s_and_saveexec_b64 s[6:7], s[0:1]
	s_cbranch_execz .LBB0_44
.LBB0_42:
	v_mul_u32_u24_e32 v0, 6, v4
	v_lshlrev_b32_e32 v5, 3, v0
	global_load_dwordx4 v[62:65], v5, s[4:5] offset:944
	global_load_dwordx4 v[66:69], v5, s[4:5] offset:976
	v_mul_u32_u24_e32 v0, 6, v61
	v_lshlrev_b32_e32 v9, 3, v0
	global_load_dwordx4 v[0:3], v9, s[4:5] offset:976
	global_load_dwordx4 v[70:73], v5, s[4:5] offset:960
	v_mov_b32_e32 v78, v36
	v_mov_b32_e32 v79, v40
	s_waitcnt lgkmcnt(3)
	v_mov_b32_e32 v76, v52
	s_waitcnt lgkmcnt(0)
	v_mov_b32_e32 v77, v50
	v_mov_b32_e32 v80, v48
	;; [unrolled: 1-line block ×5, first 2 shown]
	s_mov_b32 s6, 0xbeae86e6
	s_mov_b32 s10, 0x3f4a47b2
	;; [unrolled: 1-line block ×10, first 2 shown]
	v_mov_b32_e32 v5, 0
	s_mov_b32 s16, 0xbf5ff5aa
	s_mov_b32 s14, 0x3f3bfb3b
	v_mov_b32_e32 v44, v39
	s_mov_b64 s[20:21], 0x1c0
	s_waitcnt vmcnt(3)
	v_mul_f32_e32 v11, v58, v65
	s_waitcnt vmcnt(2)
	v_mul_f32_e32 v15, v40, v69
	v_mul_f32_e32 v13, v56, v67
	;; [unrolled: 1-line block ×4, first 2 shown]
	v_mov_b32_e32 v65, v69
	v_fma_f32 v69, v50, v68, -v15
	s_waitcnt vmcnt(1)
	v_mul_f32_e32 v15, v57, v1
	v_mul_f32_e32 v21, v28, v63
	v_mov_b32_e32 v67, v68
	v_fmac_f32_e32 v13, v54, v66
	v_fma_f32 v83, v56, v66, -v23
	v_mov_b32_e32 v89, v62
	v_mul_f32_e32 v1, v55, v1
	v_fmac_f32_e32 v15, v55, v0
	v_mov_b32_e32 v54, v32
	v_mov_b32_e32 v55, v28
	s_waitcnt vmcnt(0)
	v_mov_b32_e32 v66, v71
	v_mov_b32_e32 v88, v73
	v_fmac_f32_e32 v11, v42, v64
	v_fma_f32 v85, v46, v62, -v21
	v_fma_f32 v87, v58, v64, -v25
	v_mul_f32_e32 v84, v32, v72
	v_mul_f32_e32 v68, v48, v73
	;; [unrolled: 1-line block ×4, first 2 shown]
	v_mov_b32_e32 v64, v70
	v_mov_b32_e32 v62, v72
	v_pk_mul_f32 v[66:67], v[78:79], v[66:67]
	v_pk_mul_f32 v[54:55], v[54:55], v[88:89]
	v_sub_f32_e32 v90, v85, v69
	v_pk_add_f32 v[68:69], v[84:85], v[68:69]
	v_pk_add_f32 v[84:85], v[86:87], v[82:83]
	v_pk_fma_f32 v[64:65], v[76:77], v[64:65], v[66:67]
	v_pk_fma_f32 v[66:67], v[52:53], v[70:71], v[66:67] neg_lo:[0,0,1] neg_hi:[0,0,1]
	v_pk_fma_f32 v[70:71], v[48:49], v[72:73], v[54:55] neg_lo:[0,0,1] neg_hi:[0,0,1]
	v_pk_fma_f32 v[54:55], v[80:81], v[62:63], v[54:55]
	v_mov_b32_e32 v62, v83
	v_mov_b32_e32 v54, v87
	;; [unrolled: 1-line block ×7, first 2 shown]
	v_pk_add_f32 v[76:77], v[70:71], v[66:67]
	v_pk_add_f32 v[66:67], v[70:71], v[66:67] neg_lo:[0,1] neg_hi:[0,1]
	v_pk_add_f32 v[54:55], v[54:55], v[62:63] neg_lo:[0,1] neg_hi:[0,1]
	v_sub_f32_e32 v79, v11, v13
	v_add_f32_e32 v88, v11, v13
	v_mov_b32_e32 v65, v70
	v_mov_b32_e32 v91, v55
	;; [unrolled: 1-line block ×4, first 2 shown]
	v_pk_add_f32 v[72:73], v[68:69], v[84:85]
	v_mov_b32_e32 v63, v55
	v_pk_add_f32 v[70:71], v[66:67], v[54:55] neg_lo:[0,1] neg_hi:[0,1]
	v_pk_add_f32 v[80:81], v[90:91], v[78:79] neg_lo:[0,1] neg_hi:[0,1]
	v_mov_b32_e32 v78, v54
	v_pk_add_f32 v[54:55], v[64:65], v[88:89]
	v_mov_b32_e32 v62, v66
	v_pk_add_f32 v[64:65], v[54:55], v[72:73]
	v_mov_b32_e32 v54, v77
	v_mov_b32_e32 v73, v85
	v_mov_b32_e32 v91, v67
	v_pk_add_f32 v[66:67], v[74:75], v[64:65]
	v_pk_add_f32 v[74:75], v[54:55], v[72:73] neg_lo:[0,1] neg_hi:[0,1]
	v_mov_b32_e32 v73, v69
	v_mov_b32_e32 v89, v55
	v_pk_mul_f32 v[80:81], v[80:81], s[6:7]
	v_pk_add_f32 v[62:63], v[62:63], v[78:79]
	v_pk_mul_f32 v[74:75], v[74:75], s[10:11]
	v_pk_add_f32 v[72:73], v[72:73], v[88:89] neg_lo:[0,1] neg_hi:[0,1]
	v_pk_add_f32 v[82:83], v[90:91], v[62:63]
	v_pk_fma_f32 v[62:63], v[70:71], s[8:9], v[80:81]
	v_pk_fma_f32 v[54:55], v[72:73], s[12:13], v[74:75]
	v_pk_fma_f32 v[86:87], v[64:65], s[18:19], v[66:67] op_sel_hi:[1,0,1] neg_lo:[1,0,0] neg_hi:[1,0,0]
	v_pk_fma_f32 v[62:63], v[82:83], s[0:1], v[62:63] op_sel_hi:[1,0,1]
	v_pk_add_f32 v[54:55], v[54:55], v[86:87]
	v_pk_mul_f32 v[70:71], v[70:71], s[8:9]
	v_pk_add_f32 v[92:93], v[54:55], v[62:63]
	v_pk_add_f32 v[94:95], v[54:55], v[62:63] neg_lo:[0,1] neg_hi:[0,1]
	v_lshl_add_u64 v[54:55], v[4:5], 3, v[6:7]
	v_mov_b32_e32 v62, v92
	v_mov_b32_e32 v63, v95
	global_store_dwordx2 v[54:55], v[62:63], off offset:960
	v_pk_add_f32 v[78:79], v[78:79], v[90:91] neg_lo:[0,1] neg_hi:[0,1]
	v_mov_b32_e32 v62, v80
	v_mov_b32_e32 v63, v71
	v_pk_mul_f32 v[72:73], v[72:73], s[12:13]
	v_mov_b32_e32 v89, v85
	v_mov_b32_e32 v68, v77
	v_pk_fma_f32 v[62:63], v[78:79], s[16:17], v[62:63] op_sel_hi:[1,0,1] neg_lo:[1,0,1] neg_hi:[1,0,1]
	global_store_dwordx2 v[54:55], v[66:67], off
	v_pk_add_f32 v[76:77], v[88:89], v[68:69] neg_lo:[0,1] neg_hi:[0,1]
	v_pk_fma_f32 v[66:67], v[82:83], s[0:1], v[62:63] op_sel_hi:[1,0,1]
	v_mov_b32_e32 v62, v74
	v_mov_b32_e32 v63, v73
	v_pk_fma_f32 v[62:63], v[76:77], s[14:15], v[62:63] op_sel_hi:[1,0,1] neg_lo:[1,0,1] neg_hi:[1,0,1]
	v_fma_f32 v1, v57, v0, -v1
	v_pk_add_f32 v[68:69], v[62:63], v[86:87]
	global_load_dwordx4 v[62:65], v9, s[4:5] offset:944
	v_pk_add_f32 v[84:85], v[68:69], v[66:67]
	v_pk_add_f32 v[88:89], v[68:69], v[66:67] neg_lo:[0,1] neg_hi:[0,1]
	v_mov_b32_e32 v66, v84
	v_mov_b32_e32 v67, v89
	global_store_dwordx2 v[54:55], v[66:67], off offset:1920
	global_load_dwordx4 v[66:69], v9, s[4:5] offset:960
	v_mov_b32_e32 v50, v53
	v_mov_b32_e32 v40, v37
	;; [unrolled: 1-line block ×7, first 2 shown]
	v_pk_fma_f32 v[72:73], v[76:77], s[14:15], v[72:73] op_sel_hi:[1,0,1] neg_lo:[0,0,1] neg_hi:[0,0,1]
	v_mov_b32_e32 v89, v85
	v_pk_add_f32 v[72:73], v[72:73], v[86:87]
	v_mov_b32_e32 v95, v93
	s_waitcnt vmcnt(2)
	v_mul_f32_e32 v9, v59, v65
	v_mul_f32_e32 v11, v43, v65
	v_fmac_f32_e32 v9, v43, v64
	v_fma_f32 v43, v59, v64, -v11
	v_mul_f32_e32 v11, v41, v3
	v_fma_f32 v65, v51, v2, -v11
	v_mul_f32_e32 v11, v29, v63
	s_waitcnt vmcnt(0)
	v_mul_f32_e32 v56, v33, v68
	v_mul_f32_e32 v64, v49, v69
	;; [unrolled: 1-line block ×4, first 2 shown]
	v_fma_f32 v57, v47, v62, -v11
	v_sub_f32_e32 v36, v57, v65
	v_pk_add_f32 v[56:57], v[56:57], v[64:65]
	v_pk_add_f32 v[64:65], v[42:43], v[0:1]
	v_mov_b32_e32 v0, v53
	v_mov_b32_e32 v52, v67
	v_mov_b32_e32 v53, v2
	v_mov_b32_e32 v38, v66
	v_pk_mul_f32 v[2:3], v[40:41], v[52:53]
	v_pk_fma_f32 v[58:59], v[78:79], s[16:17], v[70:71] op_sel_hi:[1,0,1] neg_lo:[0,0,1] neg_hi:[0,0,1]
	v_pk_fma_f32 v[40:41], v[0:1], v[66:67], v[2:3] neg_lo:[0,0,1] neg_hi:[0,0,1]
	v_pk_fma_f32 v[2:3], v[50:51], v[38:39], v[2:3]
	v_mov_b32_e32 v38, v69
	v_mov_b32_e32 v39, v62
	;; [unrolled: 1-line block ×6, first 2 shown]
	v_pk_mul_f32 v[28:29], v[28:29], v[38:39]
	v_pk_fma_f32 v[58:59], v[82:83], s[0:1], v[58:59] op_sel_hi:[1,0,1]
	v_pk_fma_f32 v[38:39], v[0:1], v[68:69], v[28:29] neg_lo:[0,0,1] neg_hi:[0,0,1]
	v_pk_fma_f32 v[2:3], v[46:47], v[2:3], v[28:29]
	v_add_f32_e32 v32, v9, v15
	v_mov_b32_e32 v39, v3
	v_pk_add_f32 v[2:3], v[38:39], v[40:41]
	v_pk_add_f32 v[74:75], v[72:73], v[58:59] neg_lo:[0,1] neg_hi:[0,1]
	v_pk_add_f32 v[58:59], v[72:73], v[58:59]
	v_mov_b32_e32 v42, v43
	v_mov_b32_e32 v43, v56
	;; [unrolled: 1-line block ×10, first 2 shown]
	v_pk_add_f32 v[74:75], v[56:57], v[64:65]
	v_pk_add_f32 v[28:29], v[38:39], v[40:41] neg_lo:[0,1] neg_hi:[0,1]
	v_pk_add_f32 v[0:1], v[42:43], v[0:1] neg_lo:[0,1] neg_hi:[0,1]
	v_pk_add_f32 v[38:39], v[48:49], v[32:33]
	v_sub_f32_e32 v71, v9, v15
	v_mov_b32_e32 v37, v1
	v_mov_b32_e32 v70, v28
	v_pk_add_f32 v[40:41], v[38:39], v[74:75]
	v_mov_b32_e32 v38, v3
	v_mov_b32_e32 v75, v65
	s_movk_i32 s1, 0x1000
	v_pk_add_f32 v[42:43], v[36:37], v[70:71] neg_lo:[0,1] neg_hi:[0,1]
	v_mov_b32_e32 v46, v28
	v_mov_b32_e32 v47, v1
	v_mov_b32_e32 v70, v0
	v_pk_add_f32 v[48:49], v[38:39], v[74:75] neg_lo:[0,1] neg_hi:[0,1]
	v_mov_b32_e32 v75, v57
	v_mov_b32_e32 v33, v39
	global_store_dwordx2 v[54:55], v[58:59], off offset:3840
	v_add_co_u32_e32 v58, vcc, s1, v54
	s_mov_b32 s1, 0x88888889
	v_pk_mul_f32 v[42:43], v[42:43], s[6:7]
	v_pk_add_f32 v[46:47], v[46:47], v[70:71]
	v_mov_b32_e32 v37, v29
	v_pk_add_f32 v[0:1], v[28:29], v[0:1] neg_lo:[0,1] neg_hi:[0,1]
	v_pk_add_f32 v[44:45], v[44:45], v[40:41]
	v_pk_mul_f32 v[48:49], v[48:49], s[10:11]
	v_pk_add_f32 v[38:39], v[74:75], v[32:33] neg_lo:[0,1] neg_hi:[0,1]
	v_mul_hi_u32 v9, v61, s1
	v_pk_add_f32 v[46:47], v[36:37], v[46:47]
	v_pk_mul_f32 v[28:29], v[0:1], s[8:9]
	v_pk_fma_f32 v[0:1], v[0:1], s[8:9], v[42:43]
	v_pk_mul_f32 v[50:51], v[38:39], s[12:13]
	v_pk_fma_f32 v[38:39], v[38:39], s[12:13], v[48:49]
	v_pk_fma_f32 v[40:41], v[40:41], s[18:19], v[44:45] op_sel_hi:[1,0,1] neg_lo:[1,0,0] neg_hi:[1,0,0]
	v_addc_co_u32_e32 v59, vcc, 0, v55, vcc
	v_lshrrev_b32_e32 v9, 6, v9
	v_pk_fma_f32 v[0:1], v[46:47], s[0:1], v[0:1] op_sel_hi:[1,0,1]
	v_pk_add_f32 v[38:39], v[38:39], v[40:41]
	global_store_dwordx2 v[58:59], v[88:89], off offset:704
	global_store_dwordx2 v[58:59], v[94:95], off offset:1664
	v_mul_u32_u24_e32 v58, 0x2d0, v9
	v_mov_b32_e32 v59, v5
	v_pk_add_f32 v[52:53], v[38:39], v[0:1]
	v_pk_add_f32 v[0:1], v[38:39], v[0:1] neg_lo:[0,1] neg_hi:[0,1]
	v_lshl_add_u64 v[58:59], v[58:59], 3, v[54:55]
	v_mov_b32_e32 v38, v52
	v_mov_b32_e32 v39, v1
	;; [unrolled: 1-line block ×4, first 2 shown]
	global_store_dwordx2 v[54:55], v[72:73], off offset:2880
	global_store_dwordx2 v[58:59], v[38:39], off offset:1408
	v_pk_add_f32 v[2:3], v[32:33], v[56:57] neg_lo:[0,1] neg_hi:[0,1]
	v_pk_add_f32 v[32:33], v[70:71], v[36:37] neg_lo:[0,1] neg_hi:[0,1]
	v_mov_b32_e32 v37, v29
	v_mov_b32_e32 v38, v48
	;; [unrolled: 1-line block ×5, first 2 shown]
	v_pk_fma_f32 v[38:39], v[2:3], s[14:15], v[38:39] op_sel_hi:[1,0,1] neg_lo:[1,0,1] neg_hi:[1,0,1]
	v_pk_fma_f32 v[28:29], v[32:33], s[16:17], v[28:29] op_sel_hi:[1,0,1] neg_lo:[0,0,1] neg_hi:[0,0,1]
	;; [unrolled: 1-line block ×3, first 2 shown]
	v_mov_b32_e32 v36, v42
	v_pk_fma_f32 v[28:29], v[46:47], s[0:1], v[28:29] op_sel_hi:[1,0,1]
	v_pk_add_f32 v[2:3], v[2:3], v[40:41]
	v_pk_fma_f32 v[36:37], v[32:33], s[16:17], v[36:37] op_sel_hi:[1,0,1] neg_lo:[1,0,1] neg_hi:[1,0,1]
	v_pk_add_f32 v[32:33], v[2:3], v[28:29] neg_lo:[0,1] neg_hi:[0,1]
	v_pk_add_f32 v[2:3], v[2:3], v[28:29]
	v_lshl_add_u64 v[72:73], v[58:59], 0, s[20:21]
	v_pk_fma_f32 v[36:37], v[46:47], s[0:1], v[36:37] op_sel_hi:[1,0,1]
	v_pk_add_f32 v[38:39], v[38:39], v[40:41]
	v_mov_b32_e32 v29, v3
	v_mov_b32_e32 v3, v33
	global_store_dwordx2 v[58:59], v[44:45], off offset:448
	v_pk_add_f32 v[44:45], v[38:39], v[36:37]
	v_pk_add_f32 v[36:37], v[38:39], v[36:37] neg_lo:[0,1] neg_hi:[0,1]
	global_store_dwordx2 v[72:73], v[2:3], off offset:3840
	v_add_co_u32_e32 v2, vcc, 0x1000, v58
	v_mov_b32_e32 v38, v44
	v_mov_b32_e32 v39, v37
	;; [unrolled: 1-line block ×4, first 2 shown]
	v_addc_co_u32_e32 v3, vcc, 0, v59, vcc
	v_mov_b32_e32 v1, v53
	global_store_dwordx2 v[58:59], v[38:39], off offset:2368
	global_store_dwordx2 v[58:59], v[28:29], off offset:3328
	;; [unrolled: 1-line block ×4, first 2 shown]
	s_and_b64 exec, exec, s[2:3]
	s_cbranch_execz .LBB0_44
; %bb.43:
	v_add_u32_e32 v0, -8, v4
	v_cndmask_b32_e64 v0, v0, v60, s[2:3]
	v_mul_i32_i24_e32 v0, 6, v0
	v_mov_b32_e32 v1, v5
	v_lshl_add_u64 v[28:29], v[0:1], 3, s[4:5]
	global_load_dwordx4 v[0:3], v[28:29], off offset:944
	global_load_dwordx4 v[36:39], v[28:29], off offset:960
	;; [unrolled: 1-line block ×3, first 2 shown]
	v_mov_b32_e32 v21, v16
	v_mov_b32_e32 v15, v19
	;; [unrolled: 1-line block ×8, first 2 shown]
	s_mov_b32 s2, 0xbf955555
	s_waitcnt vmcnt(2)
	v_mov_b32_e32 v22, v3
	s_waitcnt vmcnt(1)
	v_mov_b32_e32 v23, v36
	s_waitcnt vmcnt(0)
	v_mul_f32_e32 v9, v27, v41
	v_mov_b32_e32 v45, v40
	v_mul_f32_e32 v11, v8, v1
	v_mul_f32_e32 v3, v34, v3
	v_mov_b32_e32 v8, v37
	v_mov_b32_e32 v34, v37
	;; [unrolled: 1-line block ×7, first 2 shown]
	v_fmac_f32_e32 v9, v17, v40
	v_mov_b32_e32 v40, v38
	v_mov_b32_e32 v44, v39
	v_mul_f32_e32 v29, v20, v43
	v_mov_b32_e32 v35, v2
	v_mov_b32_e32 v48, v43
	;; [unrolled: 1-line block ×3, first 2 shown]
	v_fma_f32 v10, v10, v0, -v11
	v_fmac_f32_e32 v3, v18, v2
	v_pk_mul_f32 v[18:19], v[18:19], v[22:23]
	v_pk_mul_f32 v[0:1], v[14:15], v[0:1]
	;; [unrolled: 1-line block ×4, first 2 shown]
	v_fma_f32 v42, v30, v42, -v29
	v_pk_fma_f32 v[22:23], v[28:29], v[8:9], v[18:19] op_sel:[0,0,1] op_sel_hi:[1,1,0]
	v_pk_fma_f32 v[18:19], v[32:33], v[34:35], v[18:19] op_sel:[0,0,1] op_sel_hi:[1,1,0] neg_lo:[0,0,1] neg_hi:[0,0,1]
	v_pk_fma_f32 v[28:29], v[24:25], v[46:47], v[0:1]
	v_pk_fma_f32 v[0:1], v[24:25], v[46:47], v[0:1] neg_lo:[0,0,1] neg_hi:[0,0,1]
	v_pk_fma_f32 v[24:25], v[30:31], v[48:49], v[14:15]
	v_pk_fma_f32 v[14:15], v[30:31], v[48:49], v[14:15] neg_lo:[0,0,1] neg_hi:[0,0,1]
	v_pk_fma_f32 v[30:31], v[26:27], v[44:45], v[16:17] op_sel_hi:[0,1,1]
	v_pk_fma_f32 v[16:17], v[26:27], v[44:45], v[16:17] neg_lo:[0,0,1] neg_hi:[0,0,1]
	v_mov_b32_e32 v23, v19
	v_mov_b32_e32 v29, v1
	;; [unrolled: 1-line block ×6, first 2 shown]
	v_add_f32_e32 v0, v3, v9
	v_mov_b32_e32 v11, v28
	v_mov_b32_e32 v43, v24
	;; [unrolled: 1-line block ×5, first 2 shown]
	v_pk_add_f32 v[24:25], v[28:29], v[24:25]
	v_mov_b32_e32 v15, v30
	v_pk_add_f32 v[2:3], v[2:3], v[8:9] neg_lo:[0,1] neg_hi:[0,1]
	v_pk_add_f32 v[8:9], v[22:23], v[30:31]
	v_add_f32_e32 v21, v10, v42
	v_pk_add_f32 v[10:11], v[10:11], v[42:43] neg_lo:[0,1] neg_hi:[0,1]
	v_pk_add_f32 v[14:15], v[14:15], v[18:19] neg_lo:[0,1] neg_hi:[0,1]
	v_mov_b32_e32 v20, v24
	v_mov_b32_e32 v1, v9
	;; [unrolled: 1-line block ×8, first 2 shown]
	v_pk_add_f32 v[28:29], v[24:25], v[8:9] neg_lo:[0,1] neg_hi:[0,1]
	v_pk_add_f32 v[30:31], v[14:15], v[2:3]
	v_mov_b32_e32 v18, v14
	v_mov_b32_e32 v32, v2
	;; [unrolled: 1-line block ×6, first 2 shown]
	v_pk_add_f32 v[24:25], v[0:1], v[20:21]
	v_pk_add_f32 v[16:17], v[26:27], v[16:17] neg_lo:[0,1] neg_hi:[0,1]
	v_pk_add_f32 v[18:19], v[18:19], v[32:33] neg_lo:[0,1] neg_hi:[0,1]
	;; [unrolled: 1-line block ×3, first 2 shown]
	v_pk_add_f32 v[8:9], v[8:9], v[24:25]
	v_pk_mul_f32 v[16:17], v[16:17], s[12:13]
	v_pk_add_f32 v[12:13], v[12:13], v[8:9]
	v_pk_mul_f32 v[24:25], v[28:29], s[10:11]
	v_pk_mul_f32 v[26:27], v[14:15], s[6:7]
	;; [unrolled: 1-line block ×3, first 2 shown]
	v_pk_add_f32 v[22:23], v[30:31], v[10:11]
	v_pk_fma_f32 v[8:9], v[8:9], s[2:3], v[12:13] op_sel_hi:[1,0,1]
	v_pk_fma_f32 v[28:29], v[28:29], s[10:11], v[16:17]
	v_pk_fma_f32 v[14:15], v[14:15], s[6:7], v[18:19]
	v_pk_add_f32 v[0:1], v[0:1], v[20:21] neg_lo:[0,1] neg_hi:[0,1]
	v_pk_add_f32 v[2:3], v[2:3], v[10:11] neg_lo:[0,1] neg_hi:[0,1]
	v_mov_b32_e32 v10, v24
	v_mov_b32_e32 v11, v17
	;; [unrolled: 1-line block ×6, first 2 shown]
	v_pk_add_f32 v[28:29], v[28:29], v[8:9]
	v_pk_fma_f32 v[14:15], v[22:23], s[0:1], v[14:15] op_sel_hi:[1,0,1]
	v_pk_fma_f32 v[10:11], v[0:1], s[14:15], v[10:11] op_sel_hi:[1,0,1] neg_lo:[1,0,1] neg_hi:[1,0,1]
	v_pk_fma_f32 v[20:21], v[2:3], s[16:17], v[20:21] op_sel_hi:[1,0,1] neg_lo:[1,0,1] neg_hi:[1,0,1]
	;; [unrolled: 1-line block ×4, first 2 shown]
	v_pk_add_f32 v[10:11], v[10:11], v[8:9]
	v_pk_add_f32 v[0:1], v[0:1], v[8:9]
	v_pk_fma_f32 v[2:3], v[22:23], s[0:1], v[2:3] op_sel_hi:[1,0,1]
	v_pk_fma_f32 v[8:9], v[22:23], s[0:1], v[20:21] op_sel_hi:[1,0,1]
	v_pk_add_f32 v[16:17], v[28:29], v[14:15]
	v_pk_add_f32 v[14:15], v[28:29], v[14:15] neg_lo:[0,1] neg_hi:[0,1]
	v_pk_add_f32 v[18:19], v[10:11], v[8:9]
	v_pk_add_f32 v[8:9], v[10:11], v[8:9] neg_lo:[0,1] neg_hi:[0,1]
	v_pk_add_f32 v[10:11], v[0:1], v[2:3] neg_lo:[0,1] neg_hi:[0,1]
	v_pk_add_f32 v[0:1], v[0:1], v[2:3]
	v_mov_b32_e32 v2, v16
	v_mov_b32_e32 v3, v15
	global_store_dwordx2 v[54:55], v[2:3], off offset:1856
	v_mov_b32_e32 v2, v18
	v_mov_b32_e32 v3, v9
	global_store_dwordx2 v[54:55], v[2:3], off offset:2816
	;; [unrolled: 3-line block ×3, first 2 shown]
	v_or_b32_e32 v2, 0x250, v4
	v_mov_b32_e32 v3, v5
	v_lshl_add_u64 v[2:3], v[2:3], 3, v[6:7]
	v_mov_b32_e32 v1, v11
	global_store_dwordx2 v[2:3], v[0:1], off
	v_or_b32_e32 v0, 0x2c8, v4
	v_mov_b32_e32 v1, v5
	v_lshl_add_u64 v[0:1], v[0:1], 3, v[6:7]
	v_mov_b32_e32 v9, v19
	v_or_b32_e32 v4, 0x340, v4
	global_store_dwordx2 v[0:1], v[8:9], off
	v_lshl_add_u64 v[0:1], v[4:5], 3, v[6:7]
	v_mov_b32_e32 v15, v17
	global_store_dwordx2 v[54:55], v[12:13], off offset:896
	global_store_dwordx2 v[0:1], v[14:15], off
	s_endpgm
.LBB0_44:
	s_endpgm
	.section	.rodata,"a",@progbits
	.p2align	6, 0x0
	.amdhsa_kernel fft_rtc_back_len840_factors_2_2_2_3_5_7_wgs_56_tpt_56_halfLds_sp_ip_CI_unitstride_sbrr_dirReg
		.amdhsa_group_segment_fixed_size 0
		.amdhsa_private_segment_fixed_size 0
		.amdhsa_kernarg_size 88
		.amdhsa_user_sgpr_count 2
		.amdhsa_user_sgpr_dispatch_ptr 0
		.amdhsa_user_sgpr_queue_ptr 0
		.amdhsa_user_sgpr_kernarg_segment_ptr 1
		.amdhsa_user_sgpr_dispatch_id 0
		.amdhsa_user_sgpr_kernarg_preload_length 0
		.amdhsa_user_sgpr_kernarg_preload_offset 0
		.amdhsa_user_sgpr_private_segment_size 0
		.amdhsa_uses_dynamic_stack 0
		.amdhsa_enable_private_segment 0
		.amdhsa_system_sgpr_workgroup_id_x 1
		.amdhsa_system_sgpr_workgroup_id_y 0
		.amdhsa_system_sgpr_workgroup_id_z 0
		.amdhsa_system_sgpr_workgroup_info 0
		.amdhsa_system_vgpr_workitem_id 0
		.amdhsa_next_free_vgpr 96
		.amdhsa_next_free_sgpr 22
		.amdhsa_accum_offset 96
		.amdhsa_reserve_vcc 1
		.amdhsa_float_round_mode_32 0
		.amdhsa_float_round_mode_16_64 0
		.amdhsa_float_denorm_mode_32 3
		.amdhsa_float_denorm_mode_16_64 3
		.amdhsa_dx10_clamp 1
		.amdhsa_ieee_mode 1
		.amdhsa_fp16_overflow 0
		.amdhsa_tg_split 0
		.amdhsa_exception_fp_ieee_invalid_op 0
		.amdhsa_exception_fp_denorm_src 0
		.amdhsa_exception_fp_ieee_div_zero 0
		.amdhsa_exception_fp_ieee_overflow 0
		.amdhsa_exception_fp_ieee_underflow 0
		.amdhsa_exception_fp_ieee_inexact 0
		.amdhsa_exception_int_div_zero 0
	.end_amdhsa_kernel
	.text
.Lfunc_end0:
	.size	fft_rtc_back_len840_factors_2_2_2_3_5_7_wgs_56_tpt_56_halfLds_sp_ip_CI_unitstride_sbrr_dirReg, .Lfunc_end0-fft_rtc_back_len840_factors_2_2_2_3_5_7_wgs_56_tpt_56_halfLds_sp_ip_CI_unitstride_sbrr_dirReg
                                        ; -- End function
	.section	.AMDGPU.csdata,"",@progbits
; Kernel info:
; codeLenInByte = 9716
; NumSgprs: 28
; NumVgprs: 96
; NumAgprs: 0
; TotalNumVgprs: 96
; ScratchSize: 0
; MemoryBound: 0
; FloatMode: 240
; IeeeMode: 1
; LDSByteSize: 0 bytes/workgroup (compile time only)
; SGPRBlocks: 3
; VGPRBlocks: 11
; NumSGPRsForWavesPerEU: 28
; NumVGPRsForWavesPerEU: 96
; AccumOffset: 96
; Occupancy: 5
; WaveLimiterHint : 1
; COMPUTE_PGM_RSRC2:SCRATCH_EN: 0
; COMPUTE_PGM_RSRC2:USER_SGPR: 2
; COMPUTE_PGM_RSRC2:TRAP_HANDLER: 0
; COMPUTE_PGM_RSRC2:TGID_X_EN: 1
; COMPUTE_PGM_RSRC2:TGID_Y_EN: 0
; COMPUTE_PGM_RSRC2:TGID_Z_EN: 0
; COMPUTE_PGM_RSRC2:TIDIG_COMP_CNT: 0
; COMPUTE_PGM_RSRC3_GFX90A:ACCUM_OFFSET: 23
; COMPUTE_PGM_RSRC3_GFX90A:TG_SPLIT: 0
	.text
	.p2alignl 6, 3212836864
	.fill 256, 4, 3212836864
	.type	__hip_cuid_676d17c1df90fc1d,@object ; @__hip_cuid_676d17c1df90fc1d
	.section	.bss,"aw",@nobits
	.globl	__hip_cuid_676d17c1df90fc1d
__hip_cuid_676d17c1df90fc1d:
	.byte	0                               ; 0x0
	.size	__hip_cuid_676d17c1df90fc1d, 1

	.ident	"AMD clang version 19.0.0git (https://github.com/RadeonOpenCompute/llvm-project roc-6.4.0 25133 c7fe45cf4b819c5991fe208aaa96edf142730f1d)"
	.section	".note.GNU-stack","",@progbits
	.addrsig
	.addrsig_sym __hip_cuid_676d17c1df90fc1d
	.amdgpu_metadata
---
amdhsa.kernels:
  - .agpr_count:     0
    .args:
      - .actual_access:  read_only
        .address_space:  global
        .offset:         0
        .size:           8
        .value_kind:     global_buffer
      - .offset:         8
        .size:           8
        .value_kind:     by_value
      - .actual_access:  read_only
        .address_space:  global
        .offset:         16
        .size:           8
        .value_kind:     global_buffer
      - .actual_access:  read_only
        .address_space:  global
        .offset:         24
        .size:           8
        .value_kind:     global_buffer
      - .offset:         32
        .size:           8
        .value_kind:     by_value
      - .actual_access:  read_only
        .address_space:  global
        .offset:         40
        .size:           8
        .value_kind:     global_buffer
      - .actual_access:  read_only
        .address_space:  global
        .offset:         48
        .size:           8
        .value_kind:     global_buffer
      - .offset:         56
        .size:           4
        .value_kind:     by_value
      - .actual_access:  read_only
        .address_space:  global
        .offset:         64
        .size:           8
        .value_kind:     global_buffer
      - .actual_access:  read_only
        .address_space:  global
        .offset:         72
        .size:           8
        .value_kind:     global_buffer
      - .address_space:  global
        .offset:         80
        .size:           8
        .value_kind:     global_buffer
    .group_segment_fixed_size: 0
    .kernarg_segment_align: 8
    .kernarg_segment_size: 88
    .language:       OpenCL C
    .language_version:
      - 2
      - 0
    .max_flat_workgroup_size: 56
    .name:           fft_rtc_back_len840_factors_2_2_2_3_5_7_wgs_56_tpt_56_halfLds_sp_ip_CI_unitstride_sbrr_dirReg
    .private_segment_fixed_size: 0
    .sgpr_count:     28
    .sgpr_spill_count: 0
    .symbol:         fft_rtc_back_len840_factors_2_2_2_3_5_7_wgs_56_tpt_56_halfLds_sp_ip_CI_unitstride_sbrr_dirReg.kd
    .uniform_work_group_size: 1
    .uses_dynamic_stack: false
    .vgpr_count:     96
    .vgpr_spill_count: 0
    .wavefront_size: 64
amdhsa.target:   amdgcn-amd-amdhsa--gfx950
amdhsa.version:
  - 1
  - 2
...

	.end_amdgpu_metadata
